;; amdgpu-corpus repo=ROCm/rocFFT kind=compiled arch=gfx1201 opt=O3
	.text
	.amdgcn_target "amdgcn-amd-amdhsa--gfx1201"
	.amdhsa_code_object_version 6
	.protected	fft_rtc_fwd_len1560_factors_13_2_2_10_3_wgs_156_tpt_156_half_ip_CI_unitstride_sbrr_dirReg ; -- Begin function fft_rtc_fwd_len1560_factors_13_2_2_10_3_wgs_156_tpt_156_half_ip_CI_unitstride_sbrr_dirReg
	.globl	fft_rtc_fwd_len1560_factors_13_2_2_10_3_wgs_156_tpt_156_half_ip_CI_unitstride_sbrr_dirReg
	.p2align	8
	.type	fft_rtc_fwd_len1560_factors_13_2_2_10_3_wgs_156_tpt_156_half_ip_CI_unitstride_sbrr_dirReg,@function
fft_rtc_fwd_len1560_factors_13_2_2_10_3_wgs_156_tpt_156_half_ip_CI_unitstride_sbrr_dirReg: ; @fft_rtc_fwd_len1560_factors_13_2_2_10_3_wgs_156_tpt_156_half_ip_CI_unitstride_sbrr_dirReg
; %bb.0:
	s_clause 0x2
	s_load_b128 s[4:7], s[0:1], 0x0
	s_load_b64 s[8:9], s[0:1], 0x50
	s_load_b64 s[10:11], s[0:1], 0x18
	v_mul_u32_u24_e32 v1, 0x1a5, v0
	v_mov_b32_e32 v3, 0
	s_delay_alu instid0(VALU_DEP_2) | instskip(NEXT) | instid1(VALU_DEP_1)
	v_lshrrev_b32_e32 v1, 16, v1
	v_add_nc_u32_e32 v5, ttmp9, v1
	v_mov_b32_e32 v1, 0
	v_mov_b32_e32 v2, 0
	;; [unrolled: 1-line block ×3, first 2 shown]
	s_wait_kmcnt 0x0
	v_cmp_lt_u64_e64 s2, s[6:7], 2
	s_delay_alu instid0(VALU_DEP_1)
	s_and_b32 vcc_lo, exec_lo, s2
	s_cbranch_vccnz .LBB0_8
; %bb.1:
	s_load_b64 s[2:3], s[0:1], 0x10
	v_mov_b32_e32 v1, 0
	v_mov_b32_e32 v2, 0
	s_add_nc_u64 s[12:13], s[10:11], 8
	s_mov_b64 s[14:15], 1
	s_wait_kmcnt 0x0
	s_add_nc_u64 s[16:17], s[2:3], 8
	s_mov_b32 s3, 0
.LBB0_2:                                ; =>This Inner Loop Header: Depth=1
	s_load_b64 s[18:19], s[16:17], 0x0
                                        ; implicit-def: $vgpr7_vgpr8
	s_mov_b32 s2, exec_lo
	s_wait_kmcnt 0x0
	v_or_b32_e32 v4, s19, v6
	s_delay_alu instid0(VALU_DEP_1)
	v_cmpx_ne_u64_e32 0, v[3:4]
	s_wait_alu 0xfffe
	s_xor_b32 s20, exec_lo, s2
	s_cbranch_execz .LBB0_4
; %bb.3:                                ;   in Loop: Header=BB0_2 Depth=1
	s_cvt_f32_u32 s2, s18
	s_cvt_f32_u32 s21, s19
	s_sub_nc_u64 s[24:25], 0, s[18:19]
	s_wait_alu 0xfffe
	s_delay_alu instid0(SALU_CYCLE_1) | instskip(SKIP_1) | instid1(SALU_CYCLE_2)
	s_fmamk_f32 s2, s21, 0x4f800000, s2
	s_wait_alu 0xfffe
	v_s_rcp_f32 s2, s2
	s_delay_alu instid0(TRANS32_DEP_1) | instskip(SKIP_1) | instid1(SALU_CYCLE_2)
	s_mul_f32 s2, s2, 0x5f7ffffc
	s_wait_alu 0xfffe
	s_mul_f32 s21, s2, 0x2f800000
	s_wait_alu 0xfffe
	s_delay_alu instid0(SALU_CYCLE_2) | instskip(SKIP_1) | instid1(SALU_CYCLE_2)
	s_trunc_f32 s21, s21
	s_wait_alu 0xfffe
	s_fmamk_f32 s2, s21, 0xcf800000, s2
	s_cvt_u32_f32 s23, s21
	s_wait_alu 0xfffe
	s_delay_alu instid0(SALU_CYCLE_1) | instskip(SKIP_1) | instid1(SALU_CYCLE_2)
	s_cvt_u32_f32 s22, s2
	s_wait_alu 0xfffe
	s_mul_u64 s[26:27], s[24:25], s[22:23]
	s_wait_alu 0xfffe
	s_mul_hi_u32 s29, s22, s27
	s_mul_i32 s28, s22, s27
	s_mul_hi_u32 s2, s22, s26
	s_mul_i32 s30, s23, s26
	s_wait_alu 0xfffe
	s_add_nc_u64 s[28:29], s[2:3], s[28:29]
	s_mul_hi_u32 s21, s23, s26
	s_mul_hi_u32 s31, s23, s27
	s_add_co_u32 s2, s28, s30
	s_wait_alu 0xfffe
	s_add_co_ci_u32 s2, s29, s21
	s_mul_i32 s26, s23, s27
	s_add_co_ci_u32 s27, s31, 0
	s_wait_alu 0xfffe
	s_add_nc_u64 s[26:27], s[2:3], s[26:27]
	s_wait_alu 0xfffe
	v_add_co_u32 v4, s2, s22, s26
	s_delay_alu instid0(VALU_DEP_1) | instskip(SKIP_1) | instid1(VALU_DEP_1)
	s_cmp_lg_u32 s2, 0
	s_add_co_ci_u32 s23, s23, s27
	v_readfirstlane_b32 s22, v4
	s_wait_alu 0xfffe
	s_delay_alu instid0(VALU_DEP_1)
	s_mul_u64 s[24:25], s[24:25], s[22:23]
	s_wait_alu 0xfffe
	s_mul_hi_u32 s27, s22, s25
	s_mul_i32 s26, s22, s25
	s_mul_hi_u32 s2, s22, s24
	s_mul_i32 s28, s23, s24
	s_wait_alu 0xfffe
	s_add_nc_u64 s[26:27], s[2:3], s[26:27]
	s_mul_hi_u32 s21, s23, s24
	s_mul_hi_u32 s22, s23, s25
	s_wait_alu 0xfffe
	s_add_co_u32 s2, s26, s28
	s_add_co_ci_u32 s2, s27, s21
	s_mul_i32 s24, s23, s25
	s_add_co_ci_u32 s25, s22, 0
	s_wait_alu 0xfffe
	s_add_nc_u64 s[24:25], s[2:3], s[24:25]
	s_wait_alu 0xfffe
	v_add_co_u32 v4, s2, v4, s24
	s_delay_alu instid0(VALU_DEP_1) | instskip(SKIP_1) | instid1(VALU_DEP_1)
	s_cmp_lg_u32 s2, 0
	s_add_co_ci_u32 s2, s23, s25
	v_mul_hi_u32 v13, v5, v4
	s_wait_alu 0xfffe
	v_mad_co_u64_u32 v[7:8], null, v5, s2, 0
	v_mad_co_u64_u32 v[9:10], null, v6, v4, 0
	;; [unrolled: 1-line block ×3, first 2 shown]
	s_delay_alu instid0(VALU_DEP_3) | instskip(SKIP_1) | instid1(VALU_DEP_4)
	v_add_co_u32 v4, vcc_lo, v13, v7
	s_wait_alu 0xfffd
	v_add_co_ci_u32_e32 v7, vcc_lo, 0, v8, vcc_lo
	s_delay_alu instid0(VALU_DEP_2) | instskip(SKIP_1) | instid1(VALU_DEP_2)
	v_add_co_u32 v4, vcc_lo, v4, v9
	s_wait_alu 0xfffd
	v_add_co_ci_u32_e32 v4, vcc_lo, v7, v10, vcc_lo
	s_wait_alu 0xfffd
	v_add_co_ci_u32_e32 v7, vcc_lo, 0, v12, vcc_lo
	s_delay_alu instid0(VALU_DEP_2) | instskip(SKIP_1) | instid1(VALU_DEP_2)
	v_add_co_u32 v4, vcc_lo, v4, v11
	s_wait_alu 0xfffd
	v_add_co_ci_u32_e32 v9, vcc_lo, 0, v7, vcc_lo
	s_delay_alu instid0(VALU_DEP_2) | instskip(SKIP_1) | instid1(VALU_DEP_3)
	v_mul_lo_u32 v10, s19, v4
	v_mad_co_u64_u32 v[7:8], null, s18, v4, 0
	v_mul_lo_u32 v11, s18, v9
	s_delay_alu instid0(VALU_DEP_2) | instskip(NEXT) | instid1(VALU_DEP_2)
	v_sub_co_u32 v7, vcc_lo, v5, v7
	v_add3_u32 v8, v8, v11, v10
	s_delay_alu instid0(VALU_DEP_1) | instskip(SKIP_1) | instid1(VALU_DEP_1)
	v_sub_nc_u32_e32 v10, v6, v8
	s_wait_alu 0xfffd
	v_subrev_co_ci_u32_e64 v10, s2, s19, v10, vcc_lo
	v_add_co_u32 v11, s2, v4, 2
	s_wait_alu 0xf1ff
	v_add_co_ci_u32_e64 v12, s2, 0, v9, s2
	v_sub_co_u32 v13, s2, v7, s18
	v_sub_co_ci_u32_e32 v8, vcc_lo, v6, v8, vcc_lo
	s_wait_alu 0xf1ff
	v_subrev_co_ci_u32_e64 v10, s2, 0, v10, s2
	s_delay_alu instid0(VALU_DEP_3) | instskip(NEXT) | instid1(VALU_DEP_3)
	v_cmp_le_u32_e32 vcc_lo, s18, v13
	v_cmp_eq_u32_e64 s2, s19, v8
	s_wait_alu 0xfffd
	v_cndmask_b32_e64 v13, 0, -1, vcc_lo
	v_cmp_le_u32_e32 vcc_lo, s19, v10
	s_wait_alu 0xfffd
	v_cndmask_b32_e64 v14, 0, -1, vcc_lo
	v_cmp_le_u32_e32 vcc_lo, s18, v7
	;; [unrolled: 3-line block ×3, first 2 shown]
	s_wait_alu 0xfffd
	v_cndmask_b32_e64 v15, 0, -1, vcc_lo
	v_cmp_eq_u32_e32 vcc_lo, s19, v10
	s_wait_alu 0xf1ff
	s_delay_alu instid0(VALU_DEP_2)
	v_cndmask_b32_e64 v7, v15, v7, s2
	s_wait_alu 0xfffd
	v_cndmask_b32_e32 v10, v14, v13, vcc_lo
	v_add_co_u32 v13, vcc_lo, v4, 1
	s_wait_alu 0xfffd
	v_add_co_ci_u32_e32 v14, vcc_lo, 0, v9, vcc_lo
	s_delay_alu instid0(VALU_DEP_3) | instskip(SKIP_2) | instid1(VALU_DEP_3)
	v_cmp_ne_u32_e32 vcc_lo, 0, v10
	s_wait_alu 0xfffd
	v_cndmask_b32_e32 v10, v13, v11, vcc_lo
	v_cndmask_b32_e32 v8, v14, v12, vcc_lo
	v_cmp_ne_u32_e32 vcc_lo, 0, v7
	s_wait_alu 0xfffd
	s_delay_alu instid0(VALU_DEP_2)
	v_dual_cndmask_b32 v7, v4, v10 :: v_dual_cndmask_b32 v8, v9, v8
.LBB0_4:                                ;   in Loop: Header=BB0_2 Depth=1
	s_wait_alu 0xfffe
	s_and_not1_saveexec_b32 s2, s20
	s_cbranch_execz .LBB0_6
; %bb.5:                                ;   in Loop: Header=BB0_2 Depth=1
	v_cvt_f32_u32_e32 v4, s18
	s_sub_co_i32 s20, 0, s18
	s_delay_alu instid0(VALU_DEP_1) | instskip(NEXT) | instid1(TRANS32_DEP_1)
	v_rcp_iflag_f32_e32 v4, v4
	v_mul_f32_e32 v4, 0x4f7ffffe, v4
	s_delay_alu instid0(VALU_DEP_1) | instskip(SKIP_1) | instid1(VALU_DEP_1)
	v_cvt_u32_f32_e32 v4, v4
	s_wait_alu 0xfffe
	v_mul_lo_u32 v7, s20, v4
	s_delay_alu instid0(VALU_DEP_1) | instskip(NEXT) | instid1(VALU_DEP_1)
	v_mul_hi_u32 v7, v4, v7
	v_add_nc_u32_e32 v4, v4, v7
	s_delay_alu instid0(VALU_DEP_1) | instskip(NEXT) | instid1(VALU_DEP_1)
	v_mul_hi_u32 v4, v5, v4
	v_mul_lo_u32 v7, v4, s18
	v_add_nc_u32_e32 v8, 1, v4
	s_delay_alu instid0(VALU_DEP_2) | instskip(NEXT) | instid1(VALU_DEP_1)
	v_sub_nc_u32_e32 v7, v5, v7
	v_subrev_nc_u32_e32 v9, s18, v7
	v_cmp_le_u32_e32 vcc_lo, s18, v7
	s_wait_alu 0xfffd
	s_delay_alu instid0(VALU_DEP_2) | instskip(NEXT) | instid1(VALU_DEP_1)
	v_dual_cndmask_b32 v7, v7, v9 :: v_dual_cndmask_b32 v4, v4, v8
	v_cmp_le_u32_e32 vcc_lo, s18, v7
	s_delay_alu instid0(VALU_DEP_2) | instskip(SKIP_1) | instid1(VALU_DEP_1)
	v_add_nc_u32_e32 v8, 1, v4
	s_wait_alu 0xfffd
	v_dual_cndmask_b32 v7, v4, v8 :: v_dual_mov_b32 v8, v3
.LBB0_6:                                ;   in Loop: Header=BB0_2 Depth=1
	s_wait_alu 0xfffe
	s_or_b32 exec_lo, exec_lo, s2
	s_load_b64 s[20:21], s[12:13], 0x0
	s_delay_alu instid0(VALU_DEP_1)
	v_mul_lo_u32 v4, v8, s18
	v_mul_lo_u32 v11, v7, s19
	v_mad_co_u64_u32 v[9:10], null, v7, s18, 0
	s_add_nc_u64 s[14:15], s[14:15], 1
	s_add_nc_u64 s[12:13], s[12:13], 8
	s_wait_alu 0xfffe
	v_cmp_ge_u64_e64 s2, s[14:15], s[6:7]
	s_add_nc_u64 s[16:17], s[16:17], 8
	s_delay_alu instid0(VALU_DEP_2) | instskip(NEXT) | instid1(VALU_DEP_3)
	v_add3_u32 v4, v10, v11, v4
	v_sub_co_u32 v5, vcc_lo, v5, v9
	s_wait_alu 0xfffd
	s_delay_alu instid0(VALU_DEP_2) | instskip(SKIP_3) | instid1(VALU_DEP_2)
	v_sub_co_ci_u32_e32 v4, vcc_lo, v6, v4, vcc_lo
	s_and_b32 vcc_lo, exec_lo, s2
	s_wait_kmcnt 0x0
	v_mul_lo_u32 v6, s21, v5
	v_mul_lo_u32 v4, s20, v4
	v_mad_co_u64_u32 v[1:2], null, s20, v5, v[1:2]
	s_delay_alu instid0(VALU_DEP_1)
	v_add3_u32 v2, v6, v2, v4
	s_wait_alu 0xfffe
	s_cbranch_vccnz .LBB0_9
; %bb.7:                                ;   in Loop: Header=BB0_2 Depth=1
	v_dual_mov_b32 v5, v7 :: v_dual_mov_b32 v6, v8
	s_branch .LBB0_2
.LBB0_8:
	v_dual_mov_b32 v8, v6 :: v_dual_mov_b32 v7, v5
.LBB0_9:
	s_lshl_b64 s[2:3], s[6:7], 3
	v_mul_hi_u32 v3, 0x1a41a42, v0
	s_wait_alu 0xfffe
	s_add_nc_u64 s[2:3], s[10:11], s[2:3]
	v_mov_b32_e32 v19, 0
	s_load_b64 s[2:3], s[2:3], 0x0
	s_load_b64 s[0:1], s[0:1], 0x20
                                        ; implicit-def: $vgpr32
                                        ; implicit-def: $vgpr31
                                        ; implicit-def: $vgpr30
                                        ; implicit-def: $vgpr6
                                        ; implicit-def: $vgpr29
                                        ; implicit-def: $vgpr28
                                        ; implicit-def: $vgpr27
                                        ; implicit-def: $vgpr9
                                        ; implicit-def: $vgpr26
                                        ; implicit-def: $vgpr10
                                        ; implicit-def: $vgpr24
                                        ; implicit-def: $vgpr11
                                        ; implicit-def: $vgpr23
                                        ; implicit-def: $vgpr13
                                        ; implicit-def: $vgpr21
                                        ; implicit-def: $vgpr12
                                        ; implicit-def: $vgpr22
                                        ; implicit-def: $vgpr18
                                        ; implicit-def: $vgpr25
                                        ; implicit-def: $vgpr20
	s_delay_alu instid0(VALU_DEP_2) | instskip(NEXT) | instid1(VALU_DEP_1)
	v_mul_u32_u24_e32 v3, 0x9c, v3
	v_sub_nc_u32_e32 v0, v0, v3
	s_wait_kmcnt 0x0
	v_mul_lo_u32 v4, s2, v8
	v_mul_lo_u32 v5, s3, v7
	v_mad_co_u64_u32 v[1:2], null, s2, v7, v[1:2]
	v_cmp_gt_u64_e32 vcc_lo, s[0:1], v[7:8]
	v_cmp_gt_u32_e64 s0, 0x78, v0
                                        ; implicit-def: $vgpr7
                                        ; implicit-def: $vgpr8
	s_delay_alu instid0(VALU_DEP_1) | instskip(NEXT) | instid1(VALU_DEP_3)
	s_and_b32 s1, vcc_lo, s0
	v_add3_u32 v2, v5, v2, v4
                                        ; implicit-def: $vgpr4
                                        ; implicit-def: $vgpr5
	s_delay_alu instid0(VALU_DEP_1)
	v_lshlrev_b64_e32 v[2:3], 2, v[1:2]
	v_mov_b32_e32 v1, 0
	s_wait_alu 0xfffe
	s_and_saveexec_b32 s2, s1
	s_cbranch_execz .LBB0_11
; %bb.10:
	v_mov_b32_e32 v1, 0
	s_delay_alu instid0(VALU_DEP_1) | instskip(SKIP_3) | instid1(VALU_DEP_2)
	v_lshlrev_b64_e32 v[4:5], 2, v[0:1]
	v_add_co_u32 v1, s1, s8, v2
	s_wait_alu 0xf1ff
	v_add_co_ci_u32_e64 v6, s1, s9, v3, s1
	v_add_co_u32 v14, s1, v1, v4
	s_wait_alu 0xf1ff
	s_delay_alu instid0(VALU_DEP_2)
	v_add_co_ci_u32_e64 v15, s1, v6, v5, s1
	s_clause 0xc
	global_load_b32 v1, v[14:15], off
	global_load_b32 v4, v[14:15], off offset:480
	global_load_b32 v5, v[14:15], off offset:960
	;; [unrolled: 1-line block ×12, first 2 shown]
	s_wait_loadcnt 0xc
	v_lshrrev_b32_e32 v19, 16, v1
	s_wait_loadcnt 0xb
	v_lshrrev_b32_e32 v32, 16, v4
	s_wait_loadcnt 0xa
	v_lshrrev_b32_e32 v31, 16, v5
	s_wait_loadcnt 0x9
	v_lshrrev_b32_e32 v30, 16, v6
	s_wait_loadcnt 0x8
	v_lshrrev_b32_e32 v29, 16, v7
	s_wait_loadcnt 0x7
	v_lshrrev_b32_e32 v28, 16, v8
	s_wait_loadcnt 0x6
	v_lshrrev_b32_e32 v27, 16, v9
	s_wait_loadcnt 0x5
	v_lshrrev_b32_e32 v26, 16, v10
	s_wait_loadcnt 0x4
	v_lshrrev_b32_e32 v24, 16, v11
	s_wait_loadcnt 0x3
	v_lshrrev_b32_e32 v23, 16, v13
	s_wait_loadcnt 0x2
	v_lshrrev_b32_e32 v25, 16, v20
	s_wait_loadcnt 0x1
	v_lshrrev_b32_e32 v22, 16, v18
	s_wait_loadcnt 0x0
	v_lshrrev_b32_e32 v21, 16, v12
.LBB0_11:
	s_wait_alu 0xfffe
	s_or_b32 exec_lo, exec_lo, s2
	v_add_f16_e32 v44, v4, v12
	v_sub_f16_e32 v50, v4, v12
	v_sub_f16_e32 v33, v32, v21
	v_add_f16_e32 v47, v5, v18
	v_add_f16_e32 v34, v32, v21
	v_mul_f16_e32 v54, 0x388b, v44
	v_mul_f16_e32 v58, 0xba95, v50
	v_sub_f16_e32 v52, v5, v18
	v_sub_f16_e32 v35, v31, v22
	v_mul_f16_e32 v66, 0x2fb7, v44
	v_fmamk_f16 v14, v33, 0xba95, v54
	v_mul_f16_e32 v71, 0xbbf1, v50
	v_mul_f16_e32 v55, 0xb5ac, v47
	v_fma_f16 v15, v34, 0x388b, -v58
	v_fmamk_f16 v16, v33, 0xbbf1, v66
	v_add_f16_e32 v14, v1, v14
	v_fma_f16 v17, v34, 0x2fb7, -v71
	v_fmamk_f16 v37, v35, 0xbb7b, v55
	v_add_f16_e32 v36, v31, v22
	v_mul_f16_e32 v62, 0xbb7b, v52
	v_add_f16_e32 v49, v6, v20
	v_mul_f16_e32 v69, 0xbbc4, v47
	v_mul_f16_e32 v76, 0xb3a8, v52
	v_sub_f16_e32 v56, v6, v20
	v_add_f16_e32 v15, v19, v15
	v_add_f16_e32 v16, v1, v16
	;; [unrolled: 1-line block ×4, first 2 shown]
	v_fma_f16 v39, v36, 0xb5ac, -v62
	v_sub_f16_e32 v37, v30, v25
	v_mul_f16_e32 v57, 0xbbc4, v49
	v_fmamk_f16 v40, v35, 0xb3a8, v69
	v_fma_f16 v41, v36, 0xbbc4, -v76
	v_add_f16_e32 v38, v30, v25
	v_mul_f16_e32 v65, 0xb3a8, v56
	v_sub_f16_e32 v59, v7, v13
	v_fmamk_f16 v42, v37, 0xb3a8, v57
	v_add_f16_e32 v15, v15, v39
	v_add_f16_e32 v16, v16, v40
	;; [unrolled: 1-line block ×3, first 2 shown]
	v_fma_f16 v41, v38, 0xbbc4, -v65
	v_add_f16_e32 v43, v7, v13
	v_mul_f16_e32 v73, 0xb5ac, v49
	v_mul_f16_e32 v78, 0x3b7b, v56
	v_add_f16_e32 v40, v29, v23
	v_mul_f16_e32 v67, 0x394e, v59
	v_add_f16_e32 v14, v14, v42
	v_sub_f16_e32 v39, v29, v23
	v_mul_f16_e32 v61, 0xb9fd, v43
	v_fmamk_f16 v42, v37, 0x3b7b, v73
	v_fma_f16 v45, v38, 0xb5ac, -v78
	v_add_f16_e32 v15, v15, v41
	v_fma_f16 v41, v40, 0xb9fd, -v67
	v_mul_f16_e32 v74, 0x3b15, v43
	v_add_f16_e32 v48, v8, v11
	v_fmamk_f16 v46, v39, 0x394e, v61
	v_add_f16_e32 v16, v16, v42
	v_add_f16_e32 v17, v17, v45
	;; [unrolled: 1-line block ×3, first 2 shown]
	v_sub_f16_e32 v60, v8, v11
	v_fmamk_f16 v45, v39, 0x3770, v74
	v_sub_f16_e32 v41, v28, v24
	v_mul_f16_e32 v64, 0x2fb7, v48
	v_mul_f16_e32 v75, 0x388b, v48
	v_add_f16_e32 v14, v46, v14
	v_mul_f16_e32 v79, 0x3770, v59
	v_add_f16_e32 v42, v28, v24
	v_mul_f16_e32 v70, 0x3bf1, v60
	v_fmamk_f16 v51, v41, 0x3bf1, v64
	v_add_f16_e32 v16, v45, v16
	v_fmamk_f16 v53, v41, 0xba95, v75
	v_fma_f16 v46, v40, 0x3b15, -v79
	v_fma_f16 v45, v42, 0x2fb7, -v70
	v_add_f16_e32 v14, v51, v14
	v_mul_f16_e32 v80, 0xba95, v60
	v_add_f16_e32 v16, v53, v16
	v_add_f16_e32 v51, v9, v10
	v_sub_f16_e32 v53, v9, v10
	v_add_f16_e32 v17, v46, v17
	v_add_f16_e32 v15, v45, v15
	v_fma_f16 v63, v42, 0x388b, -v80
	v_add_f16_e32 v46, v27, v26
	v_sub_f16_e32 v45, v27, v26
	v_mul_f16_e32 v68, 0x3b15, v51
	v_mul_f16_e32 v72, 0x3770, v53
	;; [unrolled: 1-line block ×4, first 2 shown]
	v_add_f16_e32 v17, v63, v17
	v_fmamk_f16 v63, v45, 0x3770, v68
	v_fma_f16 v82, v46, 0x3b15, -v72
	v_fmamk_f16 v83, v45, 0xb94e, v77
	v_fma_f16 v84, v46, 0xb9fd, -v81
	s_delay_alu instid0(VALU_DEP_4) | instskip(NEXT) | instid1(VALU_DEP_4)
	v_add_f16_e32 v14, v63, v14
	v_add_f16_e32 v15, v82, v15
	s_delay_alu instid0(VALU_DEP_4) | instskip(NEXT) | instid1(VALU_DEP_4)
	v_add_f16_e32 v16, v83, v16
	v_add_f16_e32 v17, v84, v17
	s_and_saveexec_b32 s1, s0
	s_cbranch_execz .LBB0_13
; %bb.12:
	v_mul_f16_e32 v82, 0xbb7b, v50
	v_mul_f16_e32 v83, 0xbb7b, v33
	;; [unrolled: 1-line block ×5, first 2 shown]
	v_fma_f16 v63, v34, 0xb5ac, -v82
	v_fmamk_f16 v88, v44, 0xb5ac, v83
	v_mul_f16_e32 v87, 0x3770, v37
	v_fma_f16 v90, v36, 0xb9fd, -v84
	v_fmamk_f16 v91, v47, 0xb9fd, v86
	v_add_f16_e32 v63, v19, v63
	v_add_f16_e32 v88, v1, v88
	v_mul_f16_e32 v92, 0xbbf1, v39
	v_fma_f16 v93, v38, 0x3b15, -v85
	v_mul_f16_e32 v89, 0xbbf1, v59
	v_add_f16_e32 v63, v63, v90
	v_fmamk_f16 v90, v49, 0x3b15, v87
	v_add_f16_e32 v88, v88, v91
	v_fmamk_f16 v94, v43, 0x2fb7, v92
	v_mul_f16_e32 v95, 0xb94e, v50
	v_add_f16_e32 v63, v63, v93
	v_mul_f16_e32 v93, 0x33a8, v41
	v_add_f16_e32 v88, v88, v90
	v_fma_f16 v91, v40, 0x2fb7, -v89
	v_mul_f16_e32 v90, 0x33a8, v60
	v_fma_f16 v97, v34, 0xb9fd, -v95
	v_fmamk_f16 v96, v48, 0xbbc4, v93
	v_add_f16_e32 v88, v94, v88
	v_mul_f16_e32 v98, 0x3bf1, v52
	v_add_f16_e32 v63, v91, v63
	v_fma_f16 v91, v42, 0xbbc4, -v90
	v_mul_f16_e32 v94, 0x3a95, v53
	v_add_f16_e32 v88, v96, v88
	v_add_f16_e32 v96, v19, v97
	v_fma_f16 v97, v36, 0x2fb7, -v98
	v_mul_f16_e32 v99, 0xba95, v56
	v_mul_f16_e32 v100, 0xb94e, v33
	v_add_f16_e32 v63, v91, v63
	v_fma_f16 v91, v46, 0x388b, -v94
	v_add_f16_e32 v96, v96, v97
	v_fma_f16 v97, v38, 0x388b, -v99
	v_mul_f16_e32 v101, 0x33a8, v59
	v_fmamk_f16 v103, v44, 0xb9fd, v100
	v_mul_f16_e32 v104, 0x3bf1, v35
	v_add_f16_e32 v63, v91, v63
	v_mul_f16_e32 v91, 0x3a95, v45
	v_add_f16_e32 v96, v96, v97
	v_fma_f16 v97, v40, 0xbbc4, -v101
	v_mul_f16_e32 v105, 0x3770, v60
	v_add_f16_e32 v103, v1, v103
	v_fmamk_f16 v106, v47, 0x2fb7, v104
	v_mul_f16_e32 v107, 0xba95, v37
	v_fmamk_f16 v102, v51, 0x388b, v91
	v_add_f16_e32 v96, v97, v96
	v_fma_f16 v97, v42, 0x3b15, -v105
	v_mul_f16_e32 v108, 0xbb7b, v53
	v_add_f16_e32 v103, v103, v106
	v_fmamk_f16 v106, v49, 0x388b, v107
	v_mul_f16_e32 v109, 0x33a8, v39
	v_add_f16_e32 v88, v102, v88
	v_add_f16_e32 v96, v97, v96
	v_fma_f16 v97, v46, 0xb5ac, -v108
	v_mul_f16_e32 v102, 0xb3a8, v50
	v_add_f16_e32 v103, v103, v106
	v_fmamk_f16 v106, v43, 0xbbc4, v109
	v_mul_f16_e32 v110, 0x3770, v41
	v_add_f16_e32 v96, v97, v96
	v_fma_f16 v97, v34, 0xbbc4, -v102
	v_mul_f16_e32 v111, 0x3770, v52
	v_add_f16_e32 v103, v106, v103
	v_fmamk_f16 v106, v48, 0x3b15, v110
	v_mul_f16_e32 v112, 0xbb7b, v45
	;; [unrolled: 6-line block ×6, first 2 shown]
	v_add_f16_e32 v97, v113, v97
	v_fma_f16 v113, v46, 0x2fb7, -v121
	v_fmac_f16_e32 v102, 0xbbc4, v34
	v_add_f16_e32 v106, v106, v119
	v_fmamk_f16 v119, v43, 0x388b, v122
	v_mul_f16_e32 v123, 0xbb7b, v41
	v_add_f16_e32 v97, v113, v97
	v_add_f16_e32 v102, v19, v102
	v_fmac_f16_e32 v111, 0x3b15, v36
	v_add_f16_e32 v106, v119, v106
	v_fmamk_f16 v113, v48, 0xb5ac, v123
	v_mul_f16_e32 v119, 0x3bf1, v45
	v_fma_f16 v115, v44, 0xbbc4, -v115
	v_add_f16_e32 v102, v102, v111
	v_fmac_f16_e32 v95, 0xb9fd, v34
	v_add_f16_e32 v106, v113, v106
	v_fmamk_f16 v111, v51, 0x2fb7, v119
	v_add_f16_e32 v113, v1, v115
	v_fma_f16 v115, v47, 0x3b15, -v117
	v_add_f16_e32 v95, v19, v95
	v_fmac_f16_e32 v98, 0x2fb7, v36
	v_add_f16_e32 v106, v111, v106
	v_fmac_f16_e32 v99, 0x388b, v38
	v_add_f16_e32 v111, v113, v115
	v_fma_f16 v113, v49, 0xb9fd, -v120
	v_add_f16_e32 v95, v95, v98
	v_fma_f16 v100, v44, 0xb9fd, -v100
	v_fma_f16 v104, v47, 0x2fb7, -v104
	v_fmac_f16_e32 v82, 0xb5ac, v34
	v_add_f16_e32 v111, v111, v113
	v_fma_f16 v113, v43, 0x388b, -v122
	v_add_f16_e32 v95, v95, v99
	v_fma_f16 v99, v51, 0x2fb7, -v119
	v_add_f16_e32 v100, v1, v100
	v_add_f16_e32 v82, v19, v82
	;; [unrolled: 1-line block ×3, first 2 shown]
	v_fma_f16 v111, v48, 0xb5ac, -v123
	v_fmac_f16_e32 v84, 0xb9fd, v36
	v_fma_f16 v83, v44, 0xb5ac, -v83
	v_fmac_f16_e32 v85, 0x3b15, v38
	v_fma_f16 v86, v47, 0xb9fd, -v86
	v_add_f16_e32 v98, v111, v98
	v_add_f16_e32 v82, v82, v84
	;; [unrolled: 1-line block ×7, first 2 shown]
	v_fma_f16 v100, v49, 0x388b, -v107
	v_add_f16_e32 v82, v82, v85
	v_fma_f16 v85, v51, 0xb5ac, -v112
	v_add_f16_e32 v83, v83, v86
	;; [unrolled: 2-line block ×3, first 2 shown]
	v_fma_f16 v100, v43, 0xbbc4, -v109
	v_mul_f16_e32 v87, 0xbbc4, v36
	v_add_f16_e32 v31, v32, v31
	v_add_f16_e32 v83, v83, v86
	v_fma_f16 v86, v43, 0x2fb7, -v92
	v_add_f16_e32 v84, v100, v99
	v_fma_f16 v99, v48, 0x3b15, -v110
	v_add_f16_e32 v76, v87, v76
	v_add_f16_e32 v4, v4, v5
	;; [unrolled: 1-line block ×3, first 2 shown]
	v_mul_f16_e32 v86, 0xb5ac, v38
	v_add_f16_e32 v84, v99, v84
	v_add_f16_e32 v30, v31, v30
	;; [unrolled: 1-line block ×3, first 2 shown]
	v_mul_f16_e32 v50, 0xb770, v50
	v_mul_f16_e32 v52, 0xba95, v52
	v_add_f16_e32 v84, v85, v84
	v_mul_f16_e32 v85, 0x2fb7, v34
	v_add_f16_e32 v29, v30, v29
	v_add_f16_e32 v4, v4, v7
	v_mul_f16_e32 v56, 0xbbf1, v56
	v_mul_f16_e32 v59, 0xbb7b, v59
	v_add_f16_e32 v71, v85, v71
	v_fma_f16 v85, v48, 0xbbc4, -v93
	v_add_f16_e32 v28, v29, v28
	v_add_f16_e32 v4, v4, v8
	v_fma_f16 v8, v34, 0x3b15, -v50
	v_add_f16_e32 v71, v19, v71
	;; [unrolled: 3-line block ×3, first 2 shown]
	v_add_f16_e32 v4, v4, v9
	v_add_f16_e32 v71, v71, v76
	;; [unrolled: 1-line block ×3, first 2 shown]
	v_mul_f16_e32 v78, 0xbbf1, v33
	v_mul_f16_e32 v86, 0x3b15, v40
	v_add_f16_e32 v83, v85, v83
	v_mul_f16_e32 v85, 0xb3a8, v35
	v_add_f16_e32 v71, v71, v76
	v_sub_f16_e32 v66, v66, v78
	v_add_f16_e32 v76, v86, v79
	v_mul_f16_e32 v78, 0x388b, v42
	v_sub_f16_e32 v69, v69, v85
	v_mul_f16_e32 v79, 0xba95, v33
	v_add_f16_e32 v66, v1, v66
	v_add_f16_e32 v71, v76, v71
	;; [unrolled: 1-line block ×3, first 2 shown]
	v_mul_f16_e32 v80, 0x388b, v34
	v_mul_f16_e32 v76, 0x3b7b, v37
	v_add_f16_e32 v66, v66, v69
	v_mul_f16_e32 v69, 0xb9fd, v46
	v_add_f16_e32 v71, v78, v71
	;; [unrolled: 2-line block ×3, first 2 shown]
	v_mul_f16_e32 v80, 0xbbc4, v38
	v_sub_f16_e32 v73, v73, v76
	v_mul_f16_e32 v76, 0xbb7b, v35
	v_add_f16_e32 v62, v78, v62
	v_add_f16_e32 v58, v19, v58
	v_mul_f16_e32 v78, 0xb9fd, v40
	v_add_f16_e32 v65, v80, v65
	v_sub_f16_e32 v54, v54, v79
	v_add_f16_e32 v69, v69, v81
	v_add_f16_e32 v58, v58, v62
	v_mul_f16_e32 v62, 0x2fb7, v42
	v_mul_f16_e32 v81, 0x3770, v39
	v_add_f16_e32 v66, v66, v73
	v_mul_f16_e32 v73, 0xb3a8, v37
	v_add_f16_e32 v58, v58, v65
	v_add_f16_e32 v65, v78, v67
	;; [unrolled: 1-line block ×3, first 2 shown]
	v_sub_f16_e32 v55, v55, v76
	v_add_f16_e32 v62, v62, v70
	v_sub_f16_e32 v74, v74, v81
	v_add_f16_e32 v58, v65, v58
	v_mul_f16_e32 v81, 0x394e, v39
	v_add_f16_e32 v54, v54, v55
	v_sub_f16_e32 v55, v57, v73
	v_add_f16_e32 v69, v69, v71
	v_add_f16_e32 v57, v62, v58
	v_fmamk_f16 v58, v34, 0x3b15, v50
	v_mul_f16_e32 v71, 0x3bf1, v41
	v_mul_f16_e32 v79, 0x3b15, v46
	v_add_f16_e32 v54, v54, v55
	v_sub_f16_e32 v55, v61, v81
	v_add_f16_e32 v58, v19, v58
	v_fmamk_f16 v61, v36, 0x388b, v52
	v_mul_f16_e32 v80, 0x3770, v45
	v_add_f16_e32 v62, v79, v72
	v_add_f16_e32 v54, v55, v54
	v_sub_f16_e32 v55, v64, v71
	v_add_f16_e32 v58, v58, v61
	v_fmamk_f16 v61, v38, 0x2fb7, v56
	v_mul_f16_e32 v44, 0x3b15, v44
	v_add_f16_e32 v8, v19, v8
	v_fma_f16 v9, v36, 0x388b, -v52
	v_add_f16_e32 v19, v27, v26
	v_add_f16_e32 v4, v4, v10
	;; [unrolled: 1-line block ×4, first 2 shown]
	v_sub_f16_e32 v55, v68, v80
	v_add_f16_e32 v58, v58, v61
	v_fmamk_f16 v61, v40, 0xb5ac, v59
	v_fmamk_f16 v62, v33, 0x3770, v44
	v_mul_f16_e32 v47, 0x388b, v47
	v_fmac_f16_e32 v44, 0xb770, v33
	v_add_f16_e32 v8, v8, v9
	v_add_f16_e32 v9, v19, v24
	;; [unrolled: 1-line block ×4, first 2 shown]
	v_mul_f16_e32 v55, 0xb94e, v60
	v_add_f16_e32 v58, v61, v58
	v_add_f16_e32 v60, v1, v62
	v_fmamk_f16 v61, v35, 0x3a95, v47
	v_mul_f16_e32 v49, 0x2fb7, v49
	v_add_f16_e32 v1, v1, v44
	v_fmac_f16_e32 v47, 0xba95, v35
	v_add_f16_e32 v9, v9, v23
	v_add_f16_e32 v4, v4, v13
	v_fmamk_f16 v62, v42, 0xb9fd, v55
	v_add_f16_e32 v60, v60, v61
	v_fmamk_f16 v61, v37, 0x3bf1, v49
	v_mul_f16_e32 v43, 0xb5ac, v43
	v_fmac_f16_e32 v114, 0xb9fd, v38
	v_fma_f16 v10, v38, 0x2fb7, -v56
	v_add_f16_e32 v1, v1, v47
	v_fmac_f16_e32 v49, 0xbbf1, v37
	v_add_f16_e32 v9, v9, v25
	v_add_f16_e32 v4, v4, v20
	v_add_f16_e32 v5, v62, v58
	v_add_f16_e32 v32, v60, v61
	v_fmamk_f16 v58, v39, 0x3b7b, v43
	v_mul_f16_e32 v6, 0xb9fd, v48
	v_fmac_f16_e32 v89, 0x2fb7, v40
	v_add_f16_e32 v66, v74, v66
	v_mul_f16_e32 v74, 0xba95, v41
	v_add_f16_e32 v102, v102, v114
	v_fmac_f16_e32 v116, 0x388b, v40
	v_fmac_f16_e32 v101, 0xbbc4, v40
	v_add_f16_e32 v8, v8, v10
	v_fma_f16 v10, v40, 0xb5ac, -v59
	v_add_f16_e32 v1, v1, v49
	v_fmac_f16_e32 v43, 0xbb7b, v39
	v_add_f16_e32 v9, v22, v9
	v_add_f16_e32 v4, v18, v4
	v_mul_f16_e32 v31, 0xb3a8, v53
	v_add_f16_e32 v32, v58, v32
	v_fmamk_f16 v7, v41, 0x394e, v6
	v_mul_f16_e32 v48, 0xbbc4, v51
	v_add_f16_e32 v82, v89, v82
	v_fmac_f16_e32 v90, 0xbbc4, v42
	v_sub_f16_e32 v74, v75, v74
	v_mul_f16_e32 v75, 0xb94e, v45
	v_add_f16_e32 v102, v116, v102
	v_fmac_f16_e32 v118, 0xb5ac, v42
	v_add_f16_e32 v95, v101, v95
	v_fmac_f16_e32 v105, 0x3b15, v42
	v_add_f16_e32 v8, v10, v8
	v_fma_f16 v10, v42, 0xb9fd, -v55
	v_add_f16_e32 v1, v43, v1
	v_fmac_f16_e32 v6, 0xb94e, v41
	v_add_f16_e32 v9, v21, v9
	v_add_f16_e32 v4, v12, v4
	v_fmamk_f16 v30, v46, 0xbbc4, v31
	v_add_f16_e32 v7, v7, v32
	v_fmamk_f16 v29, v45, 0x33a8, v48
	v_add_f16_e32 v82, v90, v82
	v_fmac_f16_e32 v94, 0x388b, v46
	v_add_f16_e32 v66, v74, v66
	v_sub_f16_e32 v67, v77, v75
	v_add_f16_e32 v102, v118, v102
	v_fmac_f16_e32 v121, 0x2fb7, v46
	v_add_f16_e32 v95, v105, v95
	v_fmac_f16_e32 v108, 0xb5ac, v46
	v_add_f16_e32 v8, v10, v8
	v_fma_f16 v10, v46, 0xbbc4, -v31
	v_add_f16_e32 v1, v6, v1
	v_fmac_f16_e32 v48, 0xb3a8, v45
	v_lshlrev_b32_e32 v6, 16, v9
	v_and_b32_e32 v4, 0xffff, v4
	v_add_f16_e32 v5, v30, v5
	v_add_f16_e32 v7, v29, v7
	;; [unrolled: 1-line block ×8, first 2 shown]
	v_or_b32_e32 v4, v6, v4
	v_mad_u32_u24 v6, v0, 52, 0
	v_pack_b32_f16 v9, v54, v57
	v_pack_b32_f16 v5, v7, v5
	;; [unrolled: 1-line block ×9, first 2 shown]
	v_perm_b32 v20, v17, v16, 0x5040100
	v_pack_b32_f16 v1, v1, v8
	v_perm_b32 v8, v15, v14, 0x5040100
	ds_store_b32 v6, v4
	ds_store_2addr_b32 v6, v5, v9 offset0:1 offset1:2
	ds_store_2addr_b32 v6, v7, v10 offset0:3 offset1:4
	;; [unrolled: 1-line block ×6, first 2 shown]
.LBB0_13:
	s_wait_alu 0xfffe
	s_or_b32 exec_lo, exec_lo, s1
	v_add_nc_u32_e32 v13, 0x270, v0
	v_add_nc_u32_e32 v18, 0x1d4, v0
	;; [unrolled: 1-line block ×4, first 2 shown]
	v_and_b32_e32 v8, 0xff, v0
	v_and_b32_e32 v4, 0xffff, v13
	;; [unrolled: 1-line block ×5, first 2 shown]
	v_mul_lo_u16 v30, 0x4f, v8
	v_mul_u32_u24_e32 v26, 0x4ec5, v4
	v_mul_u32_u24_e32 v27, 0x4ec5, v5
	;; [unrolled: 1-line block ×4, first 2 shown]
	v_lshrrev_b16 v35, 10, v30
	v_lshrrev_b32_e32 v31, 18, v26
	v_lshrrev_b32_e32 v32, 18, v27
	;; [unrolled: 1-line block ×4, first 2 shown]
	v_mul_lo_u16 v8, v35, 13
	v_mul_lo_u16 v4, v31, 13
	;; [unrolled: 1-line block ×5, first 2 shown]
	v_sub_nc_u16 v8, v0, v8
	v_sub_nc_u16 v4, v13, v4
	;; [unrolled: 1-line block ×5, first 2 shown]
	v_and_b32_e32 v8, 0xff, v8
	v_and_b32_e32 v4, 0xffff, v4
	;; [unrolled: 1-line block ×5, first 2 shown]
	v_lshlrev_b32_e32 v40, 2, v8
	v_lshlrev_b32_e32 v36, 2, v4
	;; [unrolled: 1-line block ×5, first 2 shown]
	global_wb scope:SCOPE_SE
	s_wait_dscnt 0x0
	s_barrier_signal -1
	s_barrier_wait -1
	global_inv scope:SCOPE_SE
	s_clause 0x4
	global_load_b32 v41, v36, s[4:5]
	global_load_b32 v42, v37, s[4:5]
	;; [unrolled: 1-line block ×5, first 2 shown]
	v_lshl_add_u32 v6, v0, 2, 0
	v_lshrrev_b32_e32 v29, 19, v29
	v_lshrrev_b32_e32 v28, 19, v28
	;; [unrolled: 1-line block ×3, first 2 shown]
	v_and_b32_e32 v35, 0xffff, v35
	v_add_nc_u32_e32 v4, 0x900, v6
	v_add_nc_u32_e32 v7, 0xe00, v6
	;; [unrolled: 1-line block ×4, first 2 shown]
	ds_load_2addr_b32 v[9:10], v6 offset1:156
	ds_load_2addr_b32 v[11:12], v4 offset0:48 offset1:204
	ds_load_2addr_b32 v[20:21], v7 offset0:40 offset1:196
	ds_load_2addr_b32 v[22:23], v5 offset0:56 offset1:212
	ds_load_2addr_b32 v[24:25], v8 offset0:96 offset1:252
	v_mul_lo_u16 v48, v29, 26
	v_mul_lo_u16 v49, v28, 26
	v_mul_lo_u16 v50, v27, 26
	v_mul_u32_u24_e32 v35, 0x68, v35
	v_mul_u32_u24_e32 v34, 0x68, v34
	v_sub_nc_u16 v48, v19, v48
	v_sub_nc_u16 v49, v1, v49
	;; [unrolled: 1-line block ×3, first 2 shown]
	v_mul_u32_u24_e32 v33, 0x68, v33
	v_mul_u32_u24_e32 v32, 0x68, v32
	v_and_b32_e32 v48, 0xffff, v48
	v_and_b32_e32 v49, 0xffff, v49
	;; [unrolled: 1-line block ×3, first 2 shown]
	v_lshrrev_b32_e32 v26, 19, v26
	v_mul_u32_u24_e32 v31, 0x68, v31
	v_add3_u32 v35, 0, v35, v40
	v_lshlrev_b32_e32 v40, 2, v48
	v_lshlrev_b32_e32 v48, 2, v49
	;; [unrolled: 1-line block ×3, first 2 shown]
	v_add3_u32 v34, 0, v34, v39
	v_add3_u32 v33, 0, v33, v38
	;; [unrolled: 1-line block ×3, first 2 shown]
	v_lshrrev_b16 v46, 11, v30
	v_mul_lo_u16 v51, v26, 26
	v_add3_u32 v31, 0, v31, v36
	global_wb scope:SCOPE_SE
	s_wait_loadcnt_dscnt 0x0
	s_barrier_signal -1
	v_mul_lo_u16 v47, v46, 26
	v_sub_nc_u16 v13, v13, v51
	s_barrier_wait -1
	global_inv scope:SCOPE_SE
	v_lshrrev_b16 v30, 12, v30
	v_sub_nc_u16 v47, v0, v47
	v_and_b32_e32 v13, 0xffff, v13
	v_mul_u32_u24_e32 v26, 0xd0, v26
	v_mul_u32_u24_e32 v27, 0xd0, v27
	v_cmp_gt_u32_e64 s0, 52, v0
	v_and_b32_e32 v47, 0xff, v47
	v_lshlrev_b32_e32 v13, 2, v13
	s_delay_alu instid0(VALU_DEP_4) | instskip(NEXT) | instid1(VALU_DEP_3)
	v_add3_u32 v27, 0, v27, v49
	v_lshlrev_b32_e32 v47, 2, v47
	v_pk_mul_f16 v36, v41, v25 op_sel:[0,1]
	v_pk_mul_f16 v37, v42, v24 op_sel:[0,1]
	;; [unrolled: 1-line block ×5, first 2 shown]
	v_pk_fma_f16 v51, v41, v25, v36 op_sel:[0,0,1] op_sel_hi:[1,1,0] neg_lo:[0,0,1] neg_hi:[0,0,1]
	v_pk_fma_f16 v52, v42, v24, v37 op_sel:[0,0,1] op_sel_hi:[1,1,0] neg_lo:[0,0,1] neg_hi:[0,0,1]
	v_pk_fma_f16 v53, v43, v21, v38 op_sel:[0,0,1] op_sel_hi:[1,1,0] neg_lo:[0,0,1] neg_hi:[0,0,1]
	v_pk_fma_f16 v54, v44, v20, v39 op_sel:[0,0,1] op_sel_hi:[1,1,0] neg_lo:[0,0,1] neg_hi:[0,0,1]
	v_pk_fma_f16 v55, v45, v12, v50 op_sel:[0,0,1] op_sel_hi:[1,1,0] neg_lo:[0,0,1] neg_hi:[0,0,1]
	v_pk_fma_f16 v12, v45, v12, v50 op_sel:[0,0,1] op_sel_hi:[1,0,0]
	v_pk_fma_f16 v20, v44, v20, v39 op_sel:[0,0,1] op_sel_hi:[1,0,0]
	;; [unrolled: 1-line block ×5, first 2 shown]
	v_bfi_b32 v12, 0xffff, v55, v12
	v_bfi_b32 v20, 0xffff, v54, v20
	;; [unrolled: 1-line block ×5, first 2 shown]
	v_pk_add_f16 v12, v9, v12 neg_lo:[0,1] neg_hi:[0,1]
	v_pk_add_f16 v20, v10, v20 neg_lo:[0,1] neg_hi:[0,1]
	v_pk_add_f16 v21, v22, v21 neg_lo:[0,1] neg_hi:[0,1]
	v_pk_add_f16 v24, v23, v24 neg_lo:[0,1] neg_hi:[0,1]
	v_pk_add_f16 v25, v11, v25 neg_lo:[0,1] neg_hi:[0,1]
	v_pk_fma_f16 v9, v9, 2.0, v12 op_sel_hi:[1,0,1] neg_lo:[0,0,1] neg_hi:[0,0,1]
	v_pk_fma_f16 v10, v10, 2.0, v20 op_sel_hi:[1,0,1] neg_lo:[0,0,1] neg_hi:[0,0,1]
	;; [unrolled: 1-line block ×5, first 2 shown]
	ds_store_2addr_b32 v35, v9, v12 offset1:13
	ds_store_2addr_b32 v34, v10, v20 offset1:13
	;; [unrolled: 1-line block ×5, first 2 shown]
	global_wb scope:SCOPE_SE
	s_wait_dscnt 0x0
	s_barrier_signal -1
	s_barrier_wait -1
	global_inv scope:SCOPE_SE
	s_clause 0x4
	global_load_b32 v31, v13, s[4:5] offset:52
	global_load_b32 v32, v49, s[4:5] offset:52
	;; [unrolled: 1-line block ×5, first 2 shown]
	v_mul_lo_u16 v9, v30, 52
	v_and_b32_e32 v10, 0xffff, v46
	ds_load_2addr_b32 v[20:21], v4 offset0:48 offset1:204
	ds_load_2addr_b32 v[11:12], v7 offset0:40 offset1:196
	v_mul_u32_u24_e32 v23, 0xd0, v29
	v_sub_nc_u16 v9, v0, v9
	v_mul_u32_u24_e32 v22, 0xd0, v10
	v_mul_u32_u24_e32 v25, 0xd0, v28
	v_add3_u32 v13, 0, v26, v13
	v_add3_u32 v37, 0, v23, v40
	v_and_b32_e32 v36, 0xff, v9
	ds_load_2addr_b32 v[9:10], v8 offset0:96 offset1:252
	v_add3_u32 v28, 0, v22, v47
	v_add3_u32 v38, 0, v25, v48
	v_mul_u32_u24_e32 v24, 9, v36
	s_delay_alu instid0(VALU_DEP_1)
	v_lshlrev_b32_e32 v29, 2, v24
	ds_load_2addr_b32 v[22:23], v6 offset1:156
	ds_load_2addr_b32 v[24:25], v5 offset0:56 offset1:212
	global_wb scope:SCOPE_SE
	s_wait_loadcnt_dscnt 0x0
	s_barrier_signal -1
	s_barrier_wait -1
	global_inv scope:SCOPE_SE
	v_pk_mul_f16 v26, v31, v10 op_sel:[0,1]
	v_pk_mul_f16 v39, v32, v9 op_sel:[0,1]
	;; [unrolled: 1-line block ×5, first 2 shown]
	v_pk_fma_f16 v43, v31, v10, v26 op_sel:[0,0,1] op_sel_hi:[1,1,0] neg_lo:[0,0,1] neg_hi:[0,0,1]
	v_pk_fma_f16 v44, v32, v9, v39 op_sel:[0,0,1] op_sel_hi:[1,1,0] neg_lo:[0,0,1] neg_hi:[0,0,1]
	;; [unrolled: 1-line block ×5, first 2 shown]
	v_pk_fma_f16 v21, v35, v21, v42 op_sel:[0,0,1] op_sel_hi:[1,0,0]
	v_pk_fma_f16 v11, v34, v11, v41 op_sel:[0,0,1] op_sel_hi:[1,0,0]
	;; [unrolled: 1-line block ×5, first 2 shown]
	v_bfi_b32 v21, 0xffff, v47, v21
	v_bfi_b32 v11, 0xffff, v46, v11
	;; [unrolled: 1-line block ×5, first 2 shown]
	v_pk_add_f16 v21, v22, v21 neg_lo:[0,1] neg_hi:[0,1]
	v_pk_add_f16 v11, v23, v11 neg_lo:[0,1] neg_hi:[0,1]
	v_pk_add_f16 v12, v24, v12 neg_lo:[0,1] neg_hi:[0,1]
	v_pk_add_f16 v9, v25, v9 neg_lo:[0,1] neg_hi:[0,1]
	v_pk_add_f16 v10, v20, v10 neg_lo:[0,1] neg_hi:[0,1]
	v_pk_fma_f16 v22, v22, 2.0, v21 op_sel_hi:[1,0,1] neg_lo:[0,0,1] neg_hi:[0,0,1]
	v_pk_fma_f16 v23, v23, 2.0, v11 op_sel_hi:[1,0,1] neg_lo:[0,0,1] neg_hi:[0,0,1]
	;; [unrolled: 1-line block ×5, first 2 shown]
	ds_store_2addr_b32 v28, v22, v21 offset1:26
	ds_store_2addr_b32 v37, v23, v11 offset1:26
	;; [unrolled: 1-line block ×5, first 2 shown]
	global_wb scope:SCOPE_SE
	s_wait_dscnt 0x0
	s_barrier_signal -1
	s_barrier_wait -1
	global_inv scope:SCOPE_SE
	s_clause 0x2
	global_load_b128 v[9:12], v29, s[4:5] offset:156
	global_load_b128 v[20:23], v29, s[4:5] offset:172
	global_load_b32 v13, v29, s[4:5] offset:188
	v_and_b32_e32 v28, 0xffff, v30
	ds_load_2addr_b32 v[24:25], v6 offset1:156
	ds_load_2addr_b32 v[26:27], v7 offset0:40 offset1:196
	ds_load_2addr_b32 v[7:8], v8 offset0:96 offset1:252
	v_lshlrev_b32_e32 v31, 2, v36
	v_add_nc_u32_e32 v32, 0x1000, v6
	v_mul_u32_u24_e32 v30, 0x820, v28
	ds_load_2addr_b32 v[28:29], v5 offset0:56 offset1:212
	ds_load_2addr_b32 v[4:5], v4 offset0:48 offset1:204
	v_add_nc_u32_e32 v33, 0xa00, v6
	global_wb scope:SCOPE_SE
	s_wait_loadcnt_dscnt 0x0
	s_barrier_signal -1
	v_add3_u32 v30, 0, v30, v31
	v_add_nc_u32_e32 v31, 0x480, v6
	s_barrier_wait -1
	global_inv scope:SCOPE_SE
	v_add_nc_u32_e32 v34, 0x200, v30
	v_add_nc_u32_e32 v35, 0x400, v30
	v_lshrrev_b32_e32 v41, 16, v25
	v_lshrrev_b32_e32 v37, 16, v26
	;; [unrolled: 1-line block ×19, first 2 shown]
	v_mul_f16_e32 v55, v46, v41
	v_mul_f16_e32 v46, v46, v25
	;; [unrolled: 1-line block ×18, first 2 shown]
	v_fma_f16 v25, v9, v25, -v55
	v_fmac_f16_e32 v46, v9, v41
	v_fma_f16 v9, v10, v28, -v56
	v_fmac_f16_e32 v47, v10, v42
	;; [unrolled: 2-line block ×9, first 2 shown]
	v_add_f16_e32 v13, v24, v9
	v_add_f16_e32 v20, v4, v11
	v_sub_f16_e32 v21, v47, v53
	v_sub_f16_e32 v23, v9, v4
	;; [unrolled: 1-line block ×3, first 2 shown]
	v_add_f16_e32 v27, v9, v7
	v_add_f16_e32 v37, v36, v47
	;; [unrolled: 1-line block ×3, first 2 shown]
	v_sub_f16_e32 v40, v47, v49
	v_add_f16_e32 v42, v47, v53
	v_sub_f16_e32 v43, v49, v47
	v_add_f16_e32 v45, v25, v10
	v_add_f16_e32 v47, v5, v12
	;; [unrolled: 1-line block ×5, first 2 shown]
	v_sub_f16_e32 v28, v4, v9
	v_sub_f16_e32 v29, v11, v7
	;; [unrolled: 1-line block ×7, first 2 shown]
	v_add_f16_e32 v62, v46, v48
	v_sub_f16_e32 v10, v10, v8
	v_sub_f16_e32 v64, v5, v12
	v_add_f16_e32 v4, v13, v4
	v_fma_f16 v13, -0.5, v20, v24
	v_add_f16_e32 v20, v23, v26
	v_fmac_f16_e32 v24, -0.5, v27
	v_add_f16_e32 v26, v37, v49
	v_fma_f16 v27, -0.5, v38, v36
	v_fmac_f16_e32 v36, -0.5, v42
	v_add_f16_e32 v5, v45, v5
	v_fma_f16 v37, -0.5, v47, v25
	v_fma_f16 v42, -0.5, v63, v46
	v_sub_f16_e32 v56, v50, v52
	v_fmac_f16_e32 v25, -0.5, v59
	v_fmac_f16_e32 v46, -0.5, v67
	v_sub_f16_e32 v44, v51, v53
	v_sub_f16_e32 v58, v8, v12
	;; [unrolled: 1-line block ×6, first 2 shown]
	v_add_f16_e32 v23, v28, v29
	v_add_f16_e32 v28, v40, v41
	;; [unrolled: 1-line block ×4, first 2 shown]
	v_fmamk_f16 v12, v55, 0x3b9c, v37
	v_fmamk_f16 v50, v10, 0xbb9c, v42
	v_sub_f16_e32 v22, v49, v51
	v_sub_f16_e32 v68, v52, v54
	v_add_f16_e32 v26, v26, v51
	v_fmamk_f16 v49, v56, 0xbb9c, v25
	v_fmac_f16_e32 v25, 0x3b9c, v56
	v_fmamk_f16 v51, v64, 0x3b9c, v46
	v_fmac_f16_e32 v46, 0xbb9c, v64
	v_sub_f16_e32 v9, v9, v7
	v_fmac_f16_e32 v37, 0xbb9c, v55
	v_fmac_f16_e32 v42, 0x3b9c, v10
	v_add_f16_e32 v29, v43, v44
	v_add_f16_e32 v38, v57, v58
	;; [unrolled: 1-line block ×5, first 2 shown]
	v_fmac_f16_e32 v12, 0x38b4, v56
	v_fmac_f16_e32 v50, 0xb8b4, v64
	v_add_f16_e32 v40, v60, v61
	v_add_f16_e32 v44, v48, v68
	v_fmamk_f16 v11, v21, 0x3b9c, v13
	v_fmac_f16_e32 v13, 0xbb9c, v21
	v_fmamk_f16 v45, v22, 0xbb9c, v24
	v_fmac_f16_e32 v24, 0x3b9c, v22
	v_fmac_f16_e32 v49, 0x38b4, v55
	;; [unrolled: 1-line block ×5, first 2 shown]
	v_fmamk_f16 v47, v9, 0xbb9c, v27
	v_fmac_f16_e32 v27, 0x3b9c, v9
	v_fmac_f16_e32 v37, 0xb8b4, v56
	;; [unrolled: 1-line block ×3, first 2 shown]
	v_fmamk_f16 v48, v39, 0x3b9c, v36
	v_fmac_f16_e32 v36, 0xbb9c, v39
	v_add_f16_e32 v4, v4, v7
	v_add_f16_e32 v7, v26, v53
	;; [unrolled: 1-line block ×4, first 2 shown]
	v_fmac_f16_e32 v12, 0x34f2, v38
	v_fmac_f16_e32 v50, 0x34f2, v43
	;; [unrolled: 1-line block ×16, first 2 shown]
	v_add_f16_e32 v9, v4, v5
	v_add_f16_e32 v10, v7, v8
	v_sub_f16_e32 v4, v4, v5
	v_sub_f16_e32 v5, v7, v8
	v_mul_f16_e32 v7, 0x38b4, v50
	v_mul_f16_e32 v22, 0xb8b4, v12
	v_fmac_f16_e32 v11, 0x34f2, v20
	v_fmac_f16_e32 v13, 0x34f2, v20
	;; [unrolled: 1-line block ×4, first 2 shown]
	v_mul_f16_e32 v8, 0x3b9c, v51
	v_mul_f16_e32 v20, 0x34f2, v25
	;; [unrolled: 1-line block ×4, first 2 shown]
	v_fmac_f16_e32 v47, 0x34f2, v28
	v_fmac_f16_e32 v27, 0x34f2, v28
	v_mul_f16_e32 v21, 0x3a79, v37
	v_mul_f16_e32 v28, 0x3a79, v42
	v_fmac_f16_e32 v7, 0x3a79, v12
	v_fmac_f16_e32 v22, 0x3a79, v50
	;; [unrolled: 1-line block ×4, first 2 shown]
	v_pack_b32_f16 v4, v4, v5
	v_fmac_f16_e32 v8, 0x34f2, v49
	v_fma_f16 v5, v46, 0x3b9c, -v20
	v_fmac_f16_e32 v23, 0x34f2, v51
	v_fma_f16 v12, v25, 0xbb9c, -v26
	v_pack_b32_f16 v9, v9, v10
	v_fma_f16 v10, v42, 0x38b4, -v21
	v_fma_f16 v21, v37, 0xb8b4, -v28
	v_add_f16_e32 v25, v11, v7
	v_add_f16_e32 v37, v47, v22
	;; [unrolled: 1-line block ×8, first 2 shown]
	v_sub_f16_e32 v7, v11, v7
	v_sub_f16_e32 v8, v45, v8
	;; [unrolled: 1-line block ×8, first 2 shown]
	v_pack_b32_f16 v13, v25, v37
	v_pack_b32_f16 v22, v26, v38
	;; [unrolled: 1-line block ×8, first 2 shown]
	ds_store_2addr_b32 v30, v9, v13 offset1:52
	ds_store_2addr_b32 v30, v22, v23 offset0:104 offset1:156
	ds_store_2addr_b32 v34, v24, v4 offset0:80 offset1:132
	;; [unrolled: 1-line block ×4, first 2 shown]
	global_wb scope:SCOPE_SE
	s_wait_dscnt 0x0
	s_barrier_signal -1
	s_barrier_wait -1
	global_inv scope:SCOPE_SE
	ds_load_2addr_b32 v[4:5], v6 offset1:156
	ds_load_2addr_b32 v[8:9], v31 offset0:24 offset1:232
	ds_load_2addr_b32 v[10:11], v32 offset0:16 offset1:172
	ds_load_2addr_b32 v[12:13], v33 offset0:36 offset1:192
	ds_load_b32 v22, v6 offset:5408
	s_and_saveexec_b32 s1, s0
	s_cbranch_execz .LBB0_15
; %bb.14:
	ds_load_b32 v20, v6 offset:1872
	ds_load_b32 v14, v6 offset:6032
	;; [unrolled: 1-line block ×3, first 2 shown]
	s_wait_dscnt 0x2
	v_lshrrev_b32_e32 v21, 16, v20
	s_wait_dscnt 0x1
	v_lshrrev_b32_e32 v15, 16, v14
	;; [unrolled: 2-line block ×3, first 2 shown]
.LBB0_15:
	s_wait_alu 0xfffe
	s_or_b32 exec_lo, exec_lo, s1
	s_and_saveexec_b32 s1, vcc_lo
	s_cbranch_execz .LBB0_18
; %bb.16:
	v_dual_mov_b32 v7, 0 :: v_dual_lshlrev_b32 v6, 1, v1
	s_wait_dscnt 0x1
	v_lshrrev_b32_e32 v35, 16, v13
	s_wait_dscnt 0x0
	v_lshrrev_b32_e32 v36, 16, v22
	v_lshrrev_b32_e32 v37, 16, v12
	;; [unrolled: 1-line block ×3, first 2 shown]
	v_lshlrev_b64_e32 v[23:24], 2, v[6:7]
	v_lshlrev_b32_e32 v6, 1, v19
	v_lshrrev_b32_e32 v34, 16, v8
	v_lshrrev_b32_e32 v39, 16, v9
	;; [unrolled: 1-line block ×4, first 2 shown]
	v_lshlrev_b64_e32 v[25:26], 2, v[6:7]
	v_lshlrev_b32_e32 v6, 1, v0
	v_add_co_u32 v23, vcc_lo, s4, v23
	s_wait_alu 0xfffd
	v_add_co_ci_u32_e32 v24, vcc_lo, s5, v24, vcc_lo
	s_delay_alu instid0(VALU_DEP_3)
	v_lshlrev_b64_e32 v[27:28], 2, v[6:7]
	v_add_co_u32 v25, vcc_lo, s4, v25
	global_load_b64 v[23:24], v[23:24], off offset:2028
	s_wait_alu 0xfffd
	v_add_co_ci_u32_e32 v26, vcc_lo, s5, v26, vcc_lo
	v_add_co_u32 v27, vcc_lo, s4, v27
	s_wait_alu 0xfffd
	v_add_co_ci_u32_e32 v28, vcc_lo, s5, v28, vcc_lo
	global_load_b64 v[25:26], v[25:26], off offset:2028
	v_mul_hi_u32 v6, 0xfc0fc0fd, v1
	v_mov_b32_e32 v1, v7
	global_load_b64 v[27:28], v[27:28], off offset:2028
	v_lshrrev_b32_e32 v19, 16, v4
	v_lshlrev_b64_e32 v[29:30], 2, v[0:1]
	v_add_co_u32 v1, vcc_lo, s8, v2
	v_lshrrev_b32_e32 v6, 9, v6
	s_wait_alu 0xfffd
	v_add_co_ci_u32_e32 v2, vcc_lo, s9, v3, vcc_lo
	s_delay_alu instid0(VALU_DEP_3) | instskip(NEXT) | instid1(VALU_DEP_3)
	v_add_co_u32 v1, vcc_lo, v1, v29
	v_mul_u32_u24_e32 v6, 0x410, v6
	s_wait_alu 0xfffd
	s_delay_alu instid0(VALU_DEP_3) | instskip(NEXT) | instid1(VALU_DEP_2)
	v_add_co_ci_u32_e32 v2, vcc_lo, v2, v30, vcc_lo
	v_lshlrev_b64_e32 v[31:32], 2, v[6:7]
	s_delay_alu instid0(VALU_DEP_1) | instskip(SKIP_1) | instid1(VALU_DEP_2)
	v_add_co_u32 v29, vcc_lo, v1, v31
	s_wait_alu 0xfffd
	v_add_co_ci_u32_e32 v30, vcc_lo, v2, v32, vcc_lo
	s_wait_loadcnt 0x2
	v_lshrrev_b32_e32 v3, 16, v23
	v_lshrrev_b32_e32 v6, 16, v24
	s_delay_alu instid0(VALU_DEP_2) | instskip(NEXT) | instid1(VALU_DEP_2)
	v_mul_f16_e32 v31, v3, v35
	v_mul_f16_e32 v32, v6, v36
	;; [unrolled: 1-line block ×4, first 2 shown]
	s_wait_loadcnt 0x1
	v_lshrrev_b32_e32 v41, 16, v25
	v_lshrrev_b32_e32 v42, 16, v26
	v_fma_f16 v13, v23, v13, -v31
	v_fma_f16 v22, v24, v22, -v32
	v_fmac_f16_e32 v3, v23, v35
	v_fmac_f16_e32 v6, v24, v36
	v_mul_f16_e32 v23, v41, v37
	v_mul_f16_e32 v24, v42, v38
	;; [unrolled: 1-line block ×4, first 2 shown]
	s_wait_loadcnt 0x0
	v_lshrrev_b32_e32 v35, 16, v27
	v_lshrrev_b32_e32 v36, 16, v28
	v_sub_f16_e32 v41, v13, v22
	v_add_f16_e32 v42, v3, v6
	v_add_f16_e32 v43, v13, v22
	v_sub_f16_e32 v44, v3, v6
	v_add_f16_e32 v3, v34, v3
	v_add_f16_e32 v13, v8, v13
	v_fma_f16 v12, v25, v12, -v23
	v_fma_f16 v11, v26, v11, -v24
	v_fmac_f16_e32 v31, v25, v37
	v_fmac_f16_e32 v32, v26, v38
	v_mul_f16_e32 v23, v35, v39
	v_mul_f16_e32 v24, v36, v40
	;; [unrolled: 1-line block ×4, first 2 shown]
	v_add_f16_e32 v3, v3, v6
	v_add_f16_e32 v6, v13, v22
	;; [unrolled: 1-line block ×3, first 2 shown]
	v_sub_f16_e32 v36, v31, v32
	v_add_f16_e32 v31, v33, v31
	v_fma_f16 v9, v27, v9, -v23
	v_fma_f16 v10, v28, v10, -v24
	v_fmac_f16_e32 v25, v27, v39
	v_fmac_f16_e32 v26, v28, v40
	v_sub_f16_e32 v13, v12, v11
	v_add_f16_e32 v35, v12, v11
	v_add_f16_e32 v12, v5, v12
	v_fma_f16 v22, -0.5, v22, v33
	v_add_f16_e32 v27, v31, v32
	v_add_f16_e32 v28, v25, v26
	;; [unrolled: 1-line block ×4, first 2 shown]
	v_sub_f16_e32 v12, v9, v10
	v_sub_f16_e32 v32, v25, v26
	v_add_f16_e32 v25, v19, v25
	v_add_f16_e32 v9, v4, v9
	v_pack_b32_f16 v3, v6, v3
	v_fmamk_f16 v6, v13, 0x3aee, v22
	v_fmac_f16_e32 v22, 0xbaee, v13
	v_fma_f16 v13, -0.5, v28, v19
	v_fma_f16 v4, -0.5, v31, v4
	v_fma_f16 v5, -0.5, v35, v5
	v_fma_f16 v34, -0.5, v42, v34
	v_fma_f16 v8, -0.5, v43, v8
	v_add_f16_e32 v19, v25, v26
	v_add_f16_e32 v9, v9, v10
	v_fmamk_f16 v10, v12, 0x3aee, v13
	v_fmamk_f16 v25, v32, 0xbaee, v4
	v_fmac_f16_e32 v13, 0xbaee, v12
	v_fmac_f16_e32 v4, 0x3aee, v32
	v_fmamk_f16 v33, v36, 0xbaee, v5
	v_fmac_f16_e32 v5, 0x3aee, v36
	v_fmamk_f16 v23, v41, 0x3aee, v34
	v_fmamk_f16 v24, v44, 0xbaee, v8
	v_fmac_f16_e32 v34, 0xbaee, v41
	v_fmac_f16_e32 v8, 0x3aee, v44
	v_pack_b32_f16 v9, v9, v19
	v_pack_b32_f16 v4, v4, v13
	;; [unrolled: 1-line block ×8, first 2 shown]
	s_clause 0x8
	global_store_b32 v[1:2], v9, off
	global_store_b32 v[1:2], v4, off offset:2080
	global_store_b32 v[1:2], v11, off offset:624
	;; [unrolled: 1-line block ×8, first 2 shown]
	s_and_b32 exec_lo, exec_lo, s0
	s_cbranch_execz .LBB0_18
; %bb.17:
	v_subrev_nc_u32_e32 v0, 52, v0
	s_delay_alu instid0(VALU_DEP_1) | instskip(NEXT) | instid1(VALU_DEP_1)
	v_cndmask_b32_e64 v0, v0, v18, s0
	v_lshlrev_b32_e32 v6, 1, v0
	s_delay_alu instid0(VALU_DEP_1) | instskip(NEXT) | instid1(VALU_DEP_1)
	v_lshlrev_b64_e32 v[3:4], 2, v[6:7]
	v_add_co_u32 v3, vcc_lo, s4, v3
	s_wait_alu 0xfffd
	s_delay_alu instid0(VALU_DEP_2) | instskip(SKIP_4) | instid1(VALU_DEP_2)
	v_add_co_ci_u32_e32 v4, vcc_lo, s5, v4, vcc_lo
	global_load_b64 v[3:4], v[3:4], off offset:2028
	s_wait_loadcnt 0x0
	v_lshrrev_b32_e32 v0, 16, v3
	v_lshrrev_b32_e32 v5, 16, v4
	v_mul_f16_e32 v6, v17, v0
	s_delay_alu instid0(VALU_DEP_2) | instskip(SKIP_2) | instid1(VALU_DEP_4)
	v_mul_f16_e32 v7, v15, v5
	v_mul_f16_e32 v0, v16, v0
	v_mul_f16_e32 v5, v14, v5
	v_fma_f16 v6, v16, v3, -v6
	s_delay_alu instid0(VALU_DEP_4) | instskip(NEXT) | instid1(VALU_DEP_4)
	v_fma_f16 v7, v14, v4, -v7
	v_fmac_f16_e32 v0, v17, v3
	s_delay_alu instid0(VALU_DEP_4) | instskip(NEXT) | instid1(VALU_DEP_4)
	v_fmac_f16_e32 v5, v15, v4
	v_add_f16_e32 v4, v20, v6
	s_delay_alu instid0(VALU_DEP_4) | instskip(NEXT) | instid1(VALU_DEP_3)
	v_add_f16_e32 v3, v6, v7
	v_add_f16_e32 v8, v0, v5
	v_sub_f16_e32 v9, v0, v5
	v_add_f16_e32 v0, v21, v0
	s_delay_alu instid0(VALU_DEP_4)
	v_fmac_f16_e32 v20, -0.5, v3
	v_sub_f16_e32 v3, v6, v7
	v_fmac_f16_e32 v21, -0.5, v8
	v_add_f16_e32 v4, v4, v7
	v_add_f16_e32 v0, v0, v5
	v_fmamk_f16 v5, v9, 0x3aee, v20
	v_fmac_f16_e32 v20, 0xbaee, v9
	v_fmamk_f16 v6, v3, 0xbaee, v21
	v_fmac_f16_e32 v21, 0x3aee, v3
	v_pack_b32_f16 v0, v4, v0
	s_delay_alu instid0(VALU_DEP_3) | instskip(NEXT) | instid1(VALU_DEP_3)
	v_pack_b32_f16 v3, v5, v6
	v_pack_b32_f16 v4, v20, v21
	s_clause 0x2
	global_store_b32 v[1:2], v0, off offset:1872
	global_store_b32 v[1:2], v3, off offset:3952
	;; [unrolled: 1-line block ×3, first 2 shown]
.LBB0_18:
	s_nop 0
	s_sendmsg sendmsg(MSG_DEALLOC_VGPRS)
	s_endpgm
	.section	.rodata,"a",@progbits
	.p2align	6, 0x0
	.amdhsa_kernel fft_rtc_fwd_len1560_factors_13_2_2_10_3_wgs_156_tpt_156_half_ip_CI_unitstride_sbrr_dirReg
		.amdhsa_group_segment_fixed_size 0
		.amdhsa_private_segment_fixed_size 0
		.amdhsa_kernarg_size 88
		.amdhsa_user_sgpr_count 2
		.amdhsa_user_sgpr_dispatch_ptr 0
		.amdhsa_user_sgpr_queue_ptr 0
		.amdhsa_user_sgpr_kernarg_segment_ptr 1
		.amdhsa_user_sgpr_dispatch_id 0
		.amdhsa_user_sgpr_private_segment_size 0
		.amdhsa_wavefront_size32 1
		.amdhsa_uses_dynamic_stack 0
		.amdhsa_enable_private_segment 0
		.amdhsa_system_sgpr_workgroup_id_x 1
		.amdhsa_system_sgpr_workgroup_id_y 0
		.amdhsa_system_sgpr_workgroup_id_z 0
		.amdhsa_system_sgpr_workgroup_info 0
		.amdhsa_system_vgpr_workitem_id 0
		.amdhsa_next_free_vgpr 124
		.amdhsa_next_free_sgpr 32
		.amdhsa_reserve_vcc 1
		.amdhsa_float_round_mode_32 0
		.amdhsa_float_round_mode_16_64 0
		.amdhsa_float_denorm_mode_32 3
		.amdhsa_float_denorm_mode_16_64 3
		.amdhsa_fp16_overflow 0
		.amdhsa_workgroup_processor_mode 1
		.amdhsa_memory_ordered 1
		.amdhsa_forward_progress 0
		.amdhsa_round_robin_scheduling 0
		.amdhsa_exception_fp_ieee_invalid_op 0
		.amdhsa_exception_fp_denorm_src 0
		.amdhsa_exception_fp_ieee_div_zero 0
		.amdhsa_exception_fp_ieee_overflow 0
		.amdhsa_exception_fp_ieee_underflow 0
		.amdhsa_exception_fp_ieee_inexact 0
		.amdhsa_exception_int_div_zero 0
	.end_amdhsa_kernel
	.text
.Lfunc_end0:
	.size	fft_rtc_fwd_len1560_factors_13_2_2_10_3_wgs_156_tpt_156_half_ip_CI_unitstride_sbrr_dirReg, .Lfunc_end0-fft_rtc_fwd_len1560_factors_13_2_2_10_3_wgs_156_tpt_156_half_ip_CI_unitstride_sbrr_dirReg
                                        ; -- End function
	.section	.AMDGPU.csdata,"",@progbits
; Kernel info:
; codeLenInByte = 9080
; NumSgprs: 34
; NumVgprs: 124
; ScratchSize: 0
; MemoryBound: 0
; FloatMode: 240
; IeeeMode: 1
; LDSByteSize: 0 bytes/workgroup (compile time only)
; SGPRBlocks: 4
; VGPRBlocks: 15
; NumSGPRsForWavesPerEU: 34
; NumVGPRsForWavesPerEU: 124
; Occupancy: 10
; WaveLimiterHint : 1
; COMPUTE_PGM_RSRC2:SCRATCH_EN: 0
; COMPUTE_PGM_RSRC2:USER_SGPR: 2
; COMPUTE_PGM_RSRC2:TRAP_HANDLER: 0
; COMPUTE_PGM_RSRC2:TGID_X_EN: 1
; COMPUTE_PGM_RSRC2:TGID_Y_EN: 0
; COMPUTE_PGM_RSRC2:TGID_Z_EN: 0
; COMPUTE_PGM_RSRC2:TIDIG_COMP_CNT: 0
	.text
	.p2alignl 7, 3214868480
	.fill 96, 4, 3214868480
	.type	__hip_cuid_fb2c7f5710edbdb2,@object ; @__hip_cuid_fb2c7f5710edbdb2
	.section	.bss,"aw",@nobits
	.globl	__hip_cuid_fb2c7f5710edbdb2
__hip_cuid_fb2c7f5710edbdb2:
	.byte	0                               ; 0x0
	.size	__hip_cuid_fb2c7f5710edbdb2, 1

	.ident	"AMD clang version 19.0.0git (https://github.com/RadeonOpenCompute/llvm-project roc-6.4.0 25133 c7fe45cf4b819c5991fe208aaa96edf142730f1d)"
	.section	".note.GNU-stack","",@progbits
	.addrsig
	.addrsig_sym __hip_cuid_fb2c7f5710edbdb2
	.amdgpu_metadata
---
amdhsa.kernels:
  - .args:
      - .actual_access:  read_only
        .address_space:  global
        .offset:         0
        .size:           8
        .value_kind:     global_buffer
      - .offset:         8
        .size:           8
        .value_kind:     by_value
      - .actual_access:  read_only
        .address_space:  global
        .offset:         16
        .size:           8
        .value_kind:     global_buffer
      - .actual_access:  read_only
        .address_space:  global
        .offset:         24
        .size:           8
        .value_kind:     global_buffer
      - .offset:         32
        .size:           8
        .value_kind:     by_value
      - .actual_access:  read_only
        .address_space:  global
        .offset:         40
        .size:           8
        .value_kind:     global_buffer
      - .actual_access:  read_only
        .address_space:  global
        .offset:         48
        .size:           8
        .value_kind:     global_buffer
      - .offset:         56
        .size:           4
        .value_kind:     by_value
      - .actual_access:  read_only
        .address_space:  global
        .offset:         64
        .size:           8
        .value_kind:     global_buffer
      - .actual_access:  read_only
        .address_space:  global
        .offset:         72
        .size:           8
        .value_kind:     global_buffer
      - .address_space:  global
        .offset:         80
        .size:           8
        .value_kind:     global_buffer
    .group_segment_fixed_size: 0
    .kernarg_segment_align: 8
    .kernarg_segment_size: 88
    .language:       OpenCL C
    .language_version:
      - 2
      - 0
    .max_flat_workgroup_size: 156
    .name:           fft_rtc_fwd_len1560_factors_13_2_2_10_3_wgs_156_tpt_156_half_ip_CI_unitstride_sbrr_dirReg
    .private_segment_fixed_size: 0
    .sgpr_count:     34
    .sgpr_spill_count: 0
    .symbol:         fft_rtc_fwd_len1560_factors_13_2_2_10_3_wgs_156_tpt_156_half_ip_CI_unitstride_sbrr_dirReg.kd
    .uniform_work_group_size: 1
    .uses_dynamic_stack: false
    .vgpr_count:     124
    .vgpr_spill_count: 0
    .wavefront_size: 32
    .workgroup_processor_mode: 1
amdhsa.target:   amdgcn-amd-amdhsa--gfx1201
amdhsa.version:
  - 1
  - 2
...

	.end_amdgpu_metadata
